;; amdgpu-corpus repo=ROCm/rocFFT kind=compiled arch=gfx906 opt=O3
	.text
	.amdgcn_target "amdgcn-amd-amdhsa--gfx906"
	.amdhsa_code_object_version 6
	.protected	fft_rtc_back_len336_factors_6_7_8_wgs_336_tpt_56_dp_op_CI_CI_sbcr_C2R ; -- Begin function fft_rtc_back_len336_factors_6_7_8_wgs_336_tpt_56_dp_op_CI_CI_sbcr_C2R
	.globl	fft_rtc_back_len336_factors_6_7_8_wgs_336_tpt_56_dp_op_CI_CI_sbcr_C2R
	.p2align	8
	.type	fft_rtc_back_len336_factors_6_7_8_wgs_336_tpt_56_dp_op_CI_CI_sbcr_C2R,@function
fft_rtc_back_len336_factors_6_7_8_wgs_336_tpt_56_dp_op_CI_CI_sbcr_C2R: ; @fft_rtc_back_len336_factors_6_7_8_wgs_336_tpt_56_dp_op_CI_CI_sbcr_C2R
; %bb.0:
	s_load_dwordx4 s[0:3], s[4:5], 0x10
	s_load_dwordx2 s[28:29], s[4:5], 0x20
	s_mov_b32 s7, 0
	s_mov_b64 s[26:27], 0
	s_waitcnt lgkmcnt(0)
	s_load_dwordx2 s[24:25], s[0:1], 0x8
	s_waitcnt lgkmcnt(0)
	s_add_u32 s8, s24, -1
	s_addc_u32 s9, s25, -1
	s_add_u32 s10, 0, 0xaaa80000
	s_addc_u32 s11, 0, 0xaa
	s_mul_hi_u32 s13, s10, -6
	s_add_i32 s11, s11, 0x2aaaaa00
	s_sub_i32 s13, s13, s10
	s_mul_i32 s16, s11, -6
	s_mul_i32 s12, s10, -6
	s_add_i32 s13, s13, s16
	s_mul_hi_u32 s14, s11, s12
	s_mul_i32 s15, s11, s12
	s_mul_i32 s17, s10, s13
	s_mul_hi_u32 s12, s10, s12
	s_mul_hi_u32 s16, s10, s13
	s_add_u32 s12, s12, s17
	s_addc_u32 s16, 0, s16
	s_add_u32 s12, s12, s15
	s_mul_hi_u32 s17, s11, s13
	s_addc_u32 s12, s16, s14
	s_addc_u32 s14, s17, 0
	s_mul_i32 s13, s11, s13
	s_add_u32 s12, s12, s13
	v_mov_b32_e32 v1, s12
	s_addc_u32 s13, 0, s14
	v_add_co_u32_e32 v1, vcc, s10, v1
	s_cmp_lg_u64 vcc, 0
	s_addc_u32 s10, s11, s13
	v_readfirstlane_b32 s13, v1
	s_mul_i32 s12, s8, s10
	s_mul_hi_u32 s14, s8, s13
	s_mul_hi_u32 s11, s8, s10
	s_add_u32 s12, s14, s12
	s_addc_u32 s11, 0, s11
	s_mul_hi_u32 s15, s9, s13
	s_mul_i32 s13, s9, s13
	s_add_u32 s12, s12, s13
	s_mul_hi_u32 s14, s9, s10
	s_addc_u32 s11, s11, s15
	s_addc_u32 s12, s14, 0
	s_mul_i32 s10, s9, s10
	s_add_u32 s10, s11, s10
	s_addc_u32 s11, 0, s12
	s_add_u32 s12, s10, 1
	s_addc_u32 s13, s11, 0
	s_add_u32 s14, s10, 2
	s_mul_i32 s16, s11, 6
	s_mul_hi_u32 s17, s10, 6
	s_addc_u32 s15, s11, 0
	s_add_i32 s17, s17, s16
	s_mul_i32 s16, s10, 6
	v_mov_b32_e32 v1, s16
	v_sub_co_u32_e32 v1, vcc, s8, v1
	s_cmp_lg_u64 vcc, 0
	s_subb_u32 s8, s9, s17
	v_subrev_co_u32_e32 v2, vcc, 6, v1
	s_cmp_lg_u64 vcc, 0
	s_subb_u32 s9, s8, 0
	v_readfirstlane_b32 s16, v2
	s_cmp_gt_u32 s16, 5
	s_cselect_b32 s16, -1, 0
	s_cmp_eq_u32 s9, 0
	s_cselect_b32 s9, s16, -1
	s_cmp_lg_u32 s9, 0
	s_cselect_b32 s9, s14, s12
	s_cselect_b32 s12, s15, s13
	v_readfirstlane_b32 s13, v1
	s_cmp_gt_u32 s13, 5
	s_cselect_b32 s13, -1, 0
	s_cmp_eq_u32 s8, 0
	s_cselect_b32 s8, s13, -1
	s_cmp_lg_u32 s8, 0
	s_cselect_b32 s9, s9, s10
	s_cselect_b32 s8, s12, s11
	s_add_u32 s30, s9, 1
	s_addc_u32 s31, s8, 0
	v_mov_b32_e32 v1, s30
	v_mov_b32_e32 v2, s31
	v_cmp_lt_u64_e32 vcc, s[6:7], v[1:2]
	s_cbranch_vccnz .LBB0_2
; %bb.1:
	v_cvt_f32_u32_e32 v1, s30
	s_sub_i32 s8, 0, s30
	s_mov_b32 s27, s7
	v_rcp_iflag_f32_e32 v1, v1
	v_mul_f32_e32 v1, 0x4f7ffffe, v1
	v_cvt_u32_f32_e32 v1, v1
	v_readfirstlane_b32 s9, v1
	s_mul_i32 s8, s8, s9
	s_mul_hi_u32 s8, s9, s8
	s_add_i32 s9, s9, s8
	s_mul_hi_u32 s8, s6, s9
	s_mul_i32 s10, s8, s30
	s_sub_i32 s10, s6, s10
	s_add_i32 s9, s8, 1
	s_sub_i32 s11, s10, s30
	s_cmp_ge_u32 s10, s30
	s_cselect_b32 s8, s9, s8
	s_cselect_b32 s10, s11, s10
	s_add_i32 s9, s8, 1
	s_cmp_ge_u32 s10, s30
	s_cselect_b32 s26, s9, s8
.LBB0_2:
	s_load_dwordx4 s[12:15], s[4:5], 0x58
	s_load_dwordx4 s[16:19], s[4:5], 0x0
	;; [unrolled: 1-line block ×4, first 2 shown]
	s_mul_i32 s4, s26, s31
	s_mul_hi_u32 s5, s26, s30
	s_add_i32 s5, s5, s4
	s_mul_i32 s4, s26, s30
	s_sub_u32 s46, s6, s4
	s_subb_u32 s4, 0, s5
	s_mul_i32 s4, s4, 6
	s_mul_hi_u32 s33, s46, 6
	s_add_i32 s33, s33, s4
	s_mul_i32 s46, s46, 6
	s_waitcnt lgkmcnt(0)
	s_mul_i32 s4, s22, s33
	s_mul_hi_u32 s5, s22, s46
	s_add_i32 s4, s5, s4
	s_mul_i32 s5, s23, s46
	s_add_i32 s49, s4, s5
	s_mul_i32 s4, s10, s33
	s_mul_hi_u32 s5, s10, s46
	s_add_i32 s4, s5, s4
	s_mul_i32 s5, s11, s46
	s_add_i32 s47, s4, s5
	v_cmp_lt_u64_e64 s[4:5], s[18:19], 3
	s_mul_i32 s50, s22, s46
	s_mul_i32 s48, s10, s46
	s_and_b64 vcc, exec, s[4:5]
	s_cbranch_vccnz .LBB0_12
; %bb.3:
	s_add_u32 s4, s28, 16
	s_addc_u32 s5, s29, 0
	s_add_u32 s34, s2, 16
	s_addc_u32 s35, s3, 0
	s_add_u32 s36, s0, 16
	v_mov_b32_e32 v1, s18
	s_addc_u32 s37, s1, 0
	s_mov_b64 s[38:39], 2
	s_mov_b32 s40, 0
	v_mov_b32_e32 v2, s19
.LBB0_4:                                ; =>This Inner Loop Header: Depth=1
	s_load_dwordx2 s[42:43], s[36:37], 0x0
	s_waitcnt lgkmcnt(0)
	s_or_b64 s[0:1], s[26:27], s[42:43]
	s_mov_b32 s41, s1
	s_cmp_lg_u64 s[40:41], 0
	s_cbranch_scc0 .LBB0_9
; %bb.5:                                ;   in Loop: Header=BB0_4 Depth=1
	v_cvt_f32_u32_e32 v3, s42
	v_cvt_f32_u32_e32 v4, s43
	s_sub_u32 s0, 0, s42
	s_subb_u32 s1, 0, s43
	v_mac_f32_e32 v3, 0x4f800000, v4
	v_rcp_f32_e32 v3, v3
	v_mul_f32_e32 v3, 0x5f7ffffc, v3
	v_mul_f32_e32 v4, 0x2f800000, v3
	v_trunc_f32_e32 v4, v4
	v_mac_f32_e32 v3, 0xcf800000, v4
	v_cvt_u32_f32_e32 v4, v4
	v_cvt_u32_f32_e32 v3, v3
	v_readfirstlane_b32 s41, v4
	v_readfirstlane_b32 s44, v3
	s_mul_i32 s45, s0, s41
	s_mul_hi_u32 s52, s0, s44
	s_mul_i32 s51, s1, s44
	s_add_i32 s45, s52, s45
	s_mul_i32 s53, s0, s44
	s_add_i32 s45, s45, s51
	s_mul_hi_u32 s51, s44, s45
	s_mul_i32 s52, s44, s45
	s_mul_hi_u32 s44, s44, s53
	s_add_u32 s44, s44, s52
	s_addc_u32 s51, 0, s51
	s_mul_hi_u32 s54, s41, s53
	s_mul_i32 s53, s41, s53
	s_add_u32 s44, s44, s53
	s_mul_hi_u32 s52, s41, s45
	s_addc_u32 s44, s51, s54
	s_addc_u32 s51, s52, 0
	s_mul_i32 s45, s41, s45
	s_add_u32 s44, s44, s45
	s_addc_u32 s45, 0, s51
	v_add_co_u32_e32 v3, vcc, s44, v3
	s_cmp_lg_u64 vcc, 0
	s_addc_u32 s41, s41, s45
	v_readfirstlane_b32 s45, v3
	s_mul_i32 s44, s0, s41
	s_mul_hi_u32 s51, s0, s45
	s_add_i32 s44, s51, s44
	s_mul_i32 s1, s1, s45
	s_add_i32 s44, s44, s1
	s_mul_i32 s0, s0, s45
	s_mul_hi_u32 s51, s41, s0
	s_mul_i32 s52, s41, s0
	s_mul_i32 s54, s45, s44
	s_mul_hi_u32 s0, s45, s0
	s_mul_hi_u32 s53, s45, s44
	s_add_u32 s0, s0, s54
	s_addc_u32 s45, 0, s53
	s_add_u32 s0, s0, s52
	s_mul_hi_u32 s1, s41, s44
	s_addc_u32 s0, s45, s51
	s_addc_u32 s1, s1, 0
	s_mul_i32 s44, s41, s44
	s_add_u32 s0, s0, s44
	s_addc_u32 s1, 0, s1
	v_add_co_u32_e32 v3, vcc, s0, v3
	s_cmp_lg_u64 vcc, 0
	s_addc_u32 s0, s41, s1
	v_readfirstlane_b32 s44, v3
	s_mul_i32 s41, s26, s0
	s_mul_hi_u32 s45, s26, s44
	s_mul_hi_u32 s1, s26, s0
	s_add_u32 s41, s45, s41
	s_addc_u32 s1, 0, s1
	s_mul_hi_u32 s51, s27, s44
	s_mul_i32 s44, s27, s44
	s_add_u32 s41, s41, s44
	s_mul_hi_u32 s45, s27, s0
	s_addc_u32 s1, s1, s51
	s_addc_u32 s41, s45, 0
	s_mul_i32 s0, s27, s0
	s_add_u32 s44, s1, s0
	s_addc_u32 s41, 0, s41
	s_mul_i32 s0, s42, s41
	s_mul_hi_u32 s1, s42, s44
	s_add_i32 s0, s1, s0
	s_mul_i32 s1, s43, s44
	s_add_i32 s45, s0, s1
	s_mul_i32 s1, s42, s44
	v_mov_b32_e32 v3, s1
	s_sub_i32 s0, s27, s45
	v_sub_co_u32_e32 v3, vcc, s26, v3
	s_cmp_lg_u64 vcc, 0
	s_subb_u32 s51, s0, s43
	v_subrev_co_u32_e64 v4, s[0:1], s42, v3
	s_cmp_lg_u64 s[0:1], 0
	s_subb_u32 s0, s51, 0
	s_cmp_ge_u32 s0, s43
	v_readfirstlane_b32 s51, v4
	s_cselect_b32 s1, -1, 0
	s_cmp_ge_u32 s51, s42
	s_cselect_b32 s51, -1, 0
	s_cmp_eq_u32 s0, s43
	s_cselect_b32 s0, s51, s1
	s_add_u32 s1, s44, 1
	s_addc_u32 s51, s41, 0
	s_add_u32 s52, s44, 2
	s_addc_u32 s53, s41, 0
	s_cmp_lg_u32 s0, 0
	s_cselect_b32 s0, s52, s1
	s_cselect_b32 s1, s53, s51
	s_cmp_lg_u64 vcc, 0
	s_subb_u32 s45, s27, s45
	s_cmp_ge_u32 s45, s43
	v_readfirstlane_b32 s52, v3
	s_cselect_b32 s51, -1, 0
	s_cmp_ge_u32 s52, s42
	s_cselect_b32 s52, -1, 0
	s_cmp_eq_u32 s45, s43
	s_cselect_b32 s45, s52, s51
	s_cmp_lg_u32 s45, 0
	s_cselect_b32 s1, s1, s41
	s_cselect_b32 s0, s0, s44
	s_cbranch_execnz .LBB0_7
.LBB0_6:                                ;   in Loop: Header=BB0_4 Depth=1
	v_cvt_f32_u32_e32 v3, s42
	s_sub_i32 s0, 0, s42
	v_rcp_iflag_f32_e32 v3, v3
	v_mul_f32_e32 v3, 0x4f7ffffe, v3
	v_cvt_u32_f32_e32 v3, v3
	v_readfirstlane_b32 s1, v3
	s_mul_i32 s0, s0, s1
	s_mul_hi_u32 s0, s1, s0
	s_add_i32 s1, s1, s0
	s_mul_hi_u32 s0, s26, s1
	s_mul_i32 s41, s0, s42
	s_sub_i32 s41, s26, s41
	s_add_i32 s1, s0, 1
	s_sub_i32 s44, s41, s42
	s_cmp_ge_u32 s41, s42
	s_cselect_b32 s0, s1, s0
	s_cselect_b32 s41, s44, s41
	s_add_i32 s1, s0, 1
	s_cmp_ge_u32 s41, s42
	s_cselect_b32 s0, s1, s0
	s_mov_b32 s1, s40
.LBB0_7:                                ;   in Loop: Header=BB0_4 Depth=1
	s_mul_i32 s31, s42, s31
	s_mul_hi_u32 s41, s42, s30
	s_add_i32 s31, s41, s31
	s_mul_i32 s41, s43, s30
	s_add_i32 s31, s31, s41
	s_mul_i32 s41, s0, s43
	s_mul_hi_u32 s43, s0, s42
	s_load_dwordx2 s[44:45], s[34:35], 0x0
	s_add_i32 s41, s43, s41
	s_mul_i32 s43, s1, s42
	s_mul_i32 s30, s42, s30
	s_add_i32 s41, s41, s43
	s_mul_i32 s42, s0, s42
	s_sub_u32 s42, s26, s42
	s_subb_u32 s41, s27, s41
	s_waitcnt lgkmcnt(0)
	s_mul_i32 s26, s44, s41
	s_mul_hi_u32 s27, s44, s42
	s_add_i32 s43, s27, s26
	s_load_dwordx2 s[26:27], s[4:5], 0x0
	s_mul_i32 s45, s45, s42
	s_add_i32 s43, s43, s45
	s_mul_i32 s44, s44, s42
	s_add_u32 s50, s44, s50
	s_addc_u32 s49, s43, s49
	s_waitcnt lgkmcnt(0)
	s_mul_i32 s41, s26, s41
	s_mul_hi_u32 s43, s26, s42
	s_add_i32 s41, s43, s41
	s_mul_i32 s27, s27, s42
	s_add_i32 s41, s41, s27
	s_mul_i32 s26, s26, s42
	s_add_u32 s48, s26, s48
	s_addc_u32 s47, s41, s47
	s_add_u32 s38, s38, 1
	s_addc_u32 s39, s39, 0
	;; [unrolled: 2-line block ×4, first 2 shown]
	v_cmp_ge_u64_e32 vcc, s[38:39], v[1:2]
	s_add_u32 s36, s36, 8
	s_addc_u32 s37, s37, 0
	s_cbranch_vccnz .LBB0_10
; %bb.8:                                ;   in Loop: Header=BB0_4 Depth=1
	s_mov_b64 s[26:27], s[0:1]
	s_branch .LBB0_4
.LBB0_9:                                ;   in Loop: Header=BB0_4 Depth=1
                                        ; implicit-def: $sgpr0_sgpr1
	s_branch .LBB0_6
.LBB0_10:
	v_mov_b32_e32 v1, s30
	v_mov_b32_e32 v2, s31
	v_cmp_lt_u64_e32 vcc, s[6:7], v[1:2]
	s_mov_b64 s[26:27], 0
	s_cbranch_vccnz .LBB0_12
; %bb.11:
	v_cvt_f32_u32_e32 v1, s30
	s_sub_i32 s0, 0, s30
	v_rcp_iflag_f32_e32 v1, v1
	v_mul_f32_e32 v1, 0x4f7ffffe, v1
	v_cvt_u32_f32_e32 v1, v1
	v_readfirstlane_b32 s1, v1
	s_mul_i32 s0, s0, s1
	s_mul_hi_u32 s0, s1, s0
	s_add_i32 s1, s1, s0
	s_mul_hi_u32 s0, s6, s1
	s_mul_i32 s4, s0, s30
	s_sub_i32 s4, s6, s4
	s_add_i32 s1, s0, 1
	s_sub_i32 s5, s4, s30
	s_cmp_ge_u32 s4, s30
	s_cselect_b32 s0, s1, s0
	s_cselect_b32 s4, s5, s4
	s_add_i32 s1, s0, 1
	s_cmp_ge_u32 s4, s30
	s_cselect_b32 s26, s1, s0
.LBB0_12:
	s_lshl_b64 s[0:1], s[18:19], 3
	s_add_u32 s2, s2, s0
	s_addc_u32 s3, s3, s1
	s_load_dwordx2 s[2:3], s[2:3], 0x0
	v_mov_b32_e32 v1, s24
	v_mov_b32_e32 v2, s25
	s_waitcnt lgkmcnt(0)
	s_mul_i32 s3, s3, s26
	s_mul_hi_u32 s4, s2, s26
	s_mul_i32 s2, s2, s26
	s_add_i32 s4, s4, s3
	s_add_u32 s2, s2, s50
	s_addc_u32 s3, s4, s49
	s_add_u32 s0, s28, s0
	s_addc_u32 s1, s29, s1
	s_add_u32 s18, s46, 6
	s_load_dwordx2 s[6:7], s[0:1], 0x0
	s_addc_u32 s19, s33, 0
	v_cmp_le_u64_e64 s[0:1], s[18:19], v[1:2]
	v_mul_u32_u24_e32 v1, 0x2aab, v0
	v_lshrrev_b32_e32 v6, 16, v1
	v_mul_lo_u16_e32 v1, 6, v6
	v_sub_u16_e32 v1, v0, v1
	s_and_b64 vcc, exec, s[0:1]
	s_cbranch_vccz .LBB0_16
; %bb.13:
	v_mad_u64_u32 v[2:3], s[4:5], s22, v1, 0
	v_mad_u64_u32 v[4:5], s[4:5], s20, v6, 0
	v_add_u32_e32 v10, 56, v6
	s_mov_b64 s[28:29], 0
	v_mad_u64_u32 v[7:8], s[4:5], s23, v1, v[3:4]
	v_mov_b32_e32 v3, v5
	v_mad_u64_u32 v[8:9], s[4:5], s21, v6, v[3:4]
	s_lshl_b64 s[4:5], s[2:3], 4
	s_add_u32 s27, s12, s4
	s_addc_u32 s4, s13, s5
	v_mov_b32_e32 v3, v7
	v_mov_b32_e32 v5, v8
	;; [unrolled: 1-line block ×3, first 2 shown]
	v_mad_u64_u32 v[7:8], s[4:5], s20, v10, 0
	v_lshlrev_b64 v[2:3], 4, v[2:3]
	v_lshlrev_b64 v[4:5], 4, v[4:5]
	v_add_co_u32_e32 v2, vcc, s27, v2
	v_addc_co_u32_e32 v3, vcc, v9, v3, vcc
	v_mad_u64_u32 v[8:9], s[4:5], s21, v10, v[8:9]
	v_add_u32_e32 v10, 0x70, v6
	v_mad_u64_u32 v[16:17], s[4:5], s20, v10, 0
	v_add_co_u32_e32 v4, vcc, v2, v4
	v_lshlrev_b64 v[7:8], 4, v[7:8]
	v_mov_b32_e32 v9, v17
	v_addc_co_u32_e32 v5, vcc, v3, v5, vcc
	v_mad_u64_u32 v[9:10], s[4:5], s21, v10, v[9:10]
	v_add_co_u32_e32 v18, vcc, v2, v7
	v_addc_co_u32_e32 v19, vcc, v3, v8, vcc
	v_add_u32_e32 v8, 0xa8, v6
	v_mad_u64_u32 v[20:21], s[4:5], s20, v8, 0
	v_mov_b32_e32 v17, v9
	v_add_u32_e32 v9, 0xe0, v6
	v_mad_u64_u32 v[22:23], s[4:5], s20, v9, 0
	v_mov_b32_e32 v7, v21
	v_mad_u64_u32 v[7:8], s[4:5], s21, v8, v[7:8]
	v_add_u32_e32 v10, 0x118, v6
	v_mov_b32_e32 v8, v23
	v_mad_u64_u32 v[24:25], s[4:5], s20, v10, 0
	v_mad_u64_u32 v[8:9], s[4:5], s21, v9, v[8:9]
	v_mov_b32_e32 v21, v7
	v_mov_b32_e32 v7, v25
	v_mad_u64_u32 v[25:26], s[4:5], s21, v10, v[7:8]
	v_mov_b32_e32 v23, v8
	global_load_dwordx4 v[8:11], v[4:5], off
	global_load_dwordx4 v[12:15], v[18:19], off
	v_lshlrev_b64 v[4:5], 4, v[16:17]
	v_lshlrev_b64 v[16:17], 4, v[20:21]
	v_add_co_u32_e32 v4, vcc, v2, v4
	v_addc_co_u32_e32 v5, vcc, v3, v5, vcc
	v_lshlrev_b64 v[18:19], 4, v[22:23]
	v_add_co_u32_e32 v32, vcc, v2, v16
	v_addc_co_u32_e32 v33, vcc, v3, v17, vcc
	;; [unrolled: 3-line block ×3, first 2 shown]
	v_add_co_u32_e32 v36, vcc, v2, v20
	v_addc_co_u32_e32 v37, vcc, v3, v21, vcc
	global_load_dwordx4 v[16:19], v[4:5], off
	global_load_dwordx4 v[20:23], v[32:33], off
	;; [unrolled: 1-line block ×4, first 2 shown]
	s_movk_i32 s4, 0x1510
	v_mad_u32_u24 v7, v1, s4, 0
	v_lshl_add_u32 v4, v6, 4, v7
	v_cmp_gt_u32_e32 vcc, 6, v0
	s_mov_b64 s[4:5], 0
	s_waitcnt vmcnt(5)
	ds_write_b128 v4, v[8:11]
	s_waitcnt vmcnt(4)
	ds_write_b128 v4, v[12:15] offset:896
	s_waitcnt vmcnt(3)
	ds_write_b128 v4, v[16:19] offset:1792
	s_waitcnt vmcnt(2)
	ds_write_b128 v4, v[20:23] offset:2688
	s_waitcnt vmcnt(1)
	ds_write_b128 v4, v[24:27] offset:3584
	s_waitcnt vmcnt(0)
	ds_write_b128 v4, v[28:31] offset:4480
                                        ; implicit-def: $vgpr4
	s_and_saveexec_b64 s[30:31], vcc
; %bb.14:
	s_mov_b64 s[28:29], exec
	v_or_b32_e32 v4, 0x150, v6
; %bb.15:
	s_or_b64 exec, exec, s[30:31]
	s_and_b64 vcc, exec, s[4:5]
	s_cbranch_vccnz .LBB0_17
	s_branch .LBB0_25
.LBB0_16:
	s_mov_b64 s[28:29], 0
                                        ; implicit-def: $vgpr7
                                        ; implicit-def: $vgpr2_vgpr3
                                        ; implicit-def: $vgpr4
	s_cbranch_execz .LBB0_25
.LBB0_17:
	v_mov_b32_e32 v3, s33
	v_add_co_u32_e32 v2, vcc, s46, v1
	v_addc_co_u32_e32 v3, vcc, 0, v3, vcc
	v_cmp_gt_u64_e32 vcc, s[24:25], v[2:3]
                                        ; implicit-def: $vgpr7
                                        ; implicit-def: $vgpr2_vgpr3
                                        ; implicit-def: $vgpr4
	s_and_saveexec_b64 s[30:31], vcc
	s_cbranch_execz .LBB0_24
; %bb.18:
	v_mad_u64_u32 v[2:3], s[4:5], s22, v1, 0
	v_mad_u64_u32 v[4:5], s[4:5], s20, v6, 0
	s_lshl_b64 s[2:3], s[2:3], 4
	v_add_u32_e32 v10, 56, v6
	v_mad_u64_u32 v[7:8], s[4:5], s23, v1, v[3:4]
	v_mov_b32_e32 v3, v5
	v_mad_u64_u32 v[8:9], s[4:5], s21, v6, v[3:4]
	s_add_u32 s4, s12, s2
	s_addc_u32 s2, s13, s3
	v_mov_b32_e32 v3, v7
	v_mov_b32_e32 v5, v8
	;; [unrolled: 1-line block ×3, first 2 shown]
	v_mad_u64_u32 v[7:8], s[2:3], s20, v10, 0
	v_lshlrev_b64 v[2:3], 4, v[2:3]
	v_add_u32_e32 v11, 0xa8, v6
	v_add_co_u32_e32 v2, vcc, s4, v2
	v_addc_co_u32_e32 v3, vcc, v9, v3, vcc
	v_mad_u64_u32 v[8:9], s[2:3], s21, v10, v[8:9]
	v_add_u32_e32 v10, 0x70, v6
	v_mad_u64_u32 v[16:17], s[2:3], s20, v10, 0
	v_mad_u64_u32 v[18:19], s[2:3], s20, v11, 0
	v_mov_b32_e32 v9, v17
	v_mad_u64_u32 v[9:10], s[2:3], s21, v10, v[9:10]
	v_mov_b32_e32 v10, v19
	v_mad_u64_u32 v[10:11], s[2:3], s21, v11, v[10:11]
	v_add_u32_e32 v11, 0xe0, v6
	v_lshlrev_b64 v[4:5], 4, v[4:5]
	v_mad_u64_u32 v[20:21], s[2:3], s20, v11, 0
	v_mov_b32_e32 v17, v9
	v_add_u32_e32 v9, 0x118, v6
	v_add_co_u32_e32 v4, vcc, v2, v4
	v_lshlrev_b64 v[7:8], 4, v[7:8]
	v_mad_u64_u32 v[24:25], s[2:3], s20, v9, 0
	v_addc_co_u32_e32 v5, vcc, v3, v5, vcc
	v_add_co_u32_e32 v22, vcc, v2, v7
	v_mov_b32_e32 v7, v21
	v_addc_co_u32_e32 v23, vcc, v3, v8, vcc
	v_mad_u64_u32 v[7:8], s[2:3], s21, v11, v[7:8]
	v_mov_b32_e32 v8, v25
	v_mov_b32_e32 v19, v10
	v_mad_u64_u32 v[25:26], s[2:3], s21, v9, v[8:9]
	global_load_dwordx4 v[8:11], v[4:5], off
	global_load_dwordx4 v[12:15], v[22:23], off
	v_lshlrev_b64 v[4:5], 4, v[16:17]
	v_lshlrev_b64 v[16:17], 4, v[18:19]
	v_add_co_u32_e32 v4, vcc, v2, v4
	v_mov_b32_e32 v21, v7
	v_addc_co_u32_e32 v5, vcc, v3, v5, vcc
	v_lshlrev_b64 v[18:19], 4, v[20:21]
	v_add_co_u32_e32 v30, vcc, v2, v16
	v_addc_co_u32_e32 v31, vcc, v3, v17, vcc
	v_lshlrev_b64 v[28:29], 4, v[24:25]
	v_add_co_u32_e32 v32, vcc, v2, v18
	v_addc_co_u32_e32 v33, vcc, v3, v19, vcc
	global_load_dwordx4 v[16:19], v[4:5], off
	global_load_dwordx4 v[20:23], v[30:31], off
	global_load_dwordx4 v[24:27], v[32:33], off
	v_add_co_u32_e32 v4, vcc, v2, v28
	v_addc_co_u32_e32 v5, vcc, v3, v29, vcc
	global_load_dwordx4 v[28:31], v[4:5], off
	s_movk_i32 s2, 0x1510
	s_or_b64 s[4:5], s[18:19], s[24:25]
	v_mad_u32_u24 v7, v1, s2, 0
	s_mov_b32 s2, 0
	s_mov_b32 s3, s5
	v_lshl_add_u32 v1, v6, 4, v7
	s_cmp_lg_u64 s[2:3], 0
	s_waitcnt vmcnt(5)
	ds_write_b128 v1, v[8:11]
	s_waitcnt vmcnt(4)
	ds_write_b128 v1, v[12:15] offset:896
	s_waitcnt vmcnt(3)
	ds_write_b128 v1, v[16:19] offset:1792
	;; [unrolled: 2-line block ×5, first 2 shown]
	s_cbranch_scc0 .LBB0_46
; %bb.19:
	v_cvt_f32_u32_e32 v1, s24
	v_cvt_f32_u32_e32 v4, s25
	s_sub_u32 s2, 0, s24
	s_subb_u32 s3, 0, s25
	v_madmk_f32 v1, v4, 0x4f800000, v1
	v_rcp_f32_e32 v1, v1
	v_mul_f32_e32 v1, 0x5f7ffffc, v1
	v_mul_f32_e32 v4, 0x2f800000, v1
	v_trunc_f32_e32 v4, v4
	v_madmk_f32 v1, v4, 0xcf800000, v1
	v_cvt_u32_f32_e32 v4, v4
	v_cvt_u32_f32_e32 v1, v1
	v_readfirstlane_b32 s4, v4
	v_readfirstlane_b32 s5, v1
	s_mul_i32 s22, s2, s4
	s_mul_hi_u32 s27, s2, s5
	s_mul_i32 s23, s3, s5
	s_add_i32 s22, s27, s22
	s_add_i32 s22, s22, s23
	s_mul_i32 s34, s2, s5
	s_mul_hi_u32 s23, s5, s22
	s_mul_i32 s27, s5, s22
	s_mul_hi_u32 s5, s5, s34
	s_add_u32 s5, s5, s27
	s_addc_u32 s23, 0, s23
	s_mul_hi_u32 s35, s4, s34
	s_mul_i32 s34, s4, s34
	s_add_u32 s5, s5, s34
	s_mul_hi_u32 s27, s4, s22
	s_addc_u32 s5, s23, s35
	s_addc_u32 s23, s27, 0
	s_mul_i32 s22, s4, s22
	s_add_u32 s5, s5, s22
	s_addc_u32 s22, 0, s23
	v_add_co_u32_e32 v1, vcc, s5, v1
	s_cmp_lg_u64 vcc, 0
	s_addc_u32 s4, s4, s22
	v_readfirstlane_b32 s22, v1
	s_mul_i32 s5, s2, s4
	s_mul_hi_u32 s23, s2, s22
	s_add_i32 s5, s23, s5
	s_mul_i32 s3, s3, s22
	s_add_i32 s5, s5, s3
	s_mul_i32 s2, s2, s22
	s_mul_hi_u32 s23, s4, s2
	s_mul_i32 s27, s4, s2
	s_mul_i32 s35, s22, s5
	s_mul_hi_u32 s2, s22, s2
	s_mul_hi_u32 s34, s22, s5
	s_add_u32 s2, s2, s35
	s_addc_u32 s22, 0, s34
	s_add_u32 s2, s2, s27
	s_mul_hi_u32 s3, s4, s5
	s_addc_u32 s2, s22, s23
	s_addc_u32 s3, s3, 0
	s_mul_i32 s5, s4, s5
	s_add_u32 s2, s2, s5
	s_addc_u32 s3, 0, s3
	v_add_co_u32_e32 v1, vcc, s2, v1
	s_cmp_lg_u64 vcc, 0
	s_addc_u32 s2, s4, s3
	v_readfirstlane_b32 s5, v1
	s_mul_i32 s4, s18, s2
	s_mul_hi_u32 s22, s18, s5
	s_mul_hi_u32 s3, s18, s2
	s_add_u32 s4, s22, s4
	s_addc_u32 s3, 0, s3
	s_mul_hi_u32 s23, s19, s5
	s_mul_i32 s5, s19, s5
	s_add_u32 s4, s4, s5
	s_mul_hi_u32 s22, s19, s2
	s_addc_u32 s3, s3, s23
	s_addc_u32 s4, s22, 0
	s_mul_i32 s2, s19, s2
	s_add_u32 s2, s3, s2
	s_addc_u32 s3, 0, s4
	s_mul_i32 s3, s24, s3
	s_mul_hi_u32 s4, s24, s2
	s_add_i32 s3, s4, s3
	s_mul_i32 s4, s25, s2
	s_mul_i32 s2, s24, s2
	s_add_i32 s22, s3, s4
	v_mov_b32_e32 v1, s2
	s_sub_i32 s3, s19, s22
	v_sub_co_u32_e32 v1, vcc, s18, v1
	s_cmp_lg_u64 vcc, 0
	s_subb_u32 s23, s3, s25
	v_subrev_co_u32_e64 v4, s[2:3], s24, v1
	s_cmp_lg_u64 s[2:3], 0
	s_subb_u32 s27, s23, 0
	s_cmp_ge_u32 s27, s25
	s_cselect_b32 s34, -1, 0
	v_cmp_le_u32_e64 s[4:5], s24, v4
	s_cmp_eq_u32 s27, s25
	v_cndmask_b32_e64 v5, 0, -1, s[4:5]
	v_mov_b32_e32 v8, s34
	s_cselect_b64 s[4:5], -1, 0
	s_cmp_lg_u64 s[2:3], 0
	v_cndmask_b32_e64 v5, v8, v5, s[4:5]
	s_subb_u32 s4, s23, s25
	v_subrev_co_u32_e64 v8, s[2:3], s24, v4
	s_cmp_lg_u64 s[2:3], 0
	s_subb_u32 s4, s4, 0
	v_cmp_ne_u32_e64 s[2:3], 0, v5
	v_cndmask_b32_e64 v4, v4, v8, s[2:3]
	v_mov_b32_e32 v5, s27
	v_mov_b32_e32 v8, s4
	s_cmp_lg_u64 vcc, 0
	v_cndmask_b32_e64 v5, v5, v8, s[2:3]
	s_subb_u32 s2, s19, s22
	s_cmp_ge_u32 s2, s25
	s_cselect_b32 s3, -1, 0
	v_cmp_le_u32_e32 vcc, s24, v1
	s_cmp_eq_u32 s2, s25
	v_cndmask_b32_e64 v8, 0, -1, vcc
	v_mov_b32_e32 v9, s3
	s_cselect_b64 vcc, -1, 0
	v_cndmask_b32_e32 v8, v9, v8, vcc
	v_mov_b32_e32 v9, s2
	v_cmp_ne_u32_e32 vcc, 0, v8
	v_cndmask_b32_e32 v5, v9, v5, vcc
	v_cndmask_b32_e32 v4, v1, v4, vcc
	s_cbranch_execnz .LBB0_21
.LBB0_20:
	v_cvt_f32_u32_e32 v1, s24
	s_sub_i32 s2, 0, s24
	v_mov_b32_e32 v5, 0
	v_rcp_iflag_f32_e32 v1, v1
	v_mul_f32_e32 v1, 0x4f7ffffe, v1
	v_cvt_u32_f32_e32 v1, v1
	v_mul_lo_u32 v4, s2, v1
	v_mul_hi_u32 v4, v1, v4
	v_add_u32_e32 v1, v1, v4
	v_mul_hi_u32 v1, s18, v1
	v_mul_lo_u32 v1, v1, s24
	v_sub_u32_e32 v1, s18, v1
	v_subrev_u32_e32 v4, s24, v1
	v_cmp_le_u32_e32 vcc, s24, v1
	v_cndmask_b32_e32 v1, v1, v4, vcc
	v_subrev_u32_e32 v4, s24, v1
	v_cmp_le_u32_e32 vcc, s24, v1
	v_cndmask_b32_e32 v4, v1, v4, vcc
.LBB0_21:
	v_sub_co_u32_e32 v4, vcc, 6, v4
	v_mov_b32_e32 v1, 0
	v_subb_co_u32_e32 v5, vcc, 0, v5, vcc
	v_cmp_gt_u64_e32 vcc, v[4:5], v[0:1]
	s_mov_b64 s[2:3], s[28:29]
                                        ; implicit-def: $vgpr4
	s_and_saveexec_b64 s[4:5], vcc
; %bb.22:
	v_add_u32_e32 v4, 0x150, v6
	s_or_b64 s[2:3], s[28:29], exec
; %bb.23:
	s_or_b64 exec, exec, s[4:5]
	s_andn2_b64 s[4:5], s[28:29], exec
	s_and_b64 s[2:3], s[2:3], exec
	s_or_b64 s[28:29], s[4:5], s[2:3]
.LBB0_24:
	s_or_b64 exec, exec, s[30:31]
.LBB0_25:
	s_and_saveexec_b64 s[2:3], s[28:29]
	s_cbranch_execz .LBB0_27
; %bb.26:
	v_mad_u64_u32 v[5:6], s[4:5], s20, v4, 0
	v_mov_b32_e32 v1, v6
	v_mad_u64_u32 v[8:9], s[4:5], s21, v4, v[1:2]
	v_mov_b32_e32 v6, v8
	v_lshlrev_b64 v[4:5], 4, v[5:6]
	v_add_co_u32_e32 v1, vcc, v2, v4
	v_addc_co_u32_e32 v2, vcc, v3, v5, vcc
	global_load_dwordx4 v[1:4], v[1:2], off
	v_add_u32_e32 v5, 0x1500, v7
	s_waitcnt vmcnt(0)
	ds_write2_b64 v5, v[1:2], v[3:4] offset1:1
.LBB0_27:
	s_or_b64 exec, exec, s[2:3]
	s_movk_i32 s2, 0x493
	v_mul_u32_u24_sdwa v1, v0, s2 dst_sel:DWORD dst_unused:UNUSED_PAD src0_sel:WORD_0 src1_sel:DWORD
	s_add_u32 s2, 0, 0xaaa80000
	s_addc_u32 s3, 0, 0xaa
	s_add_i32 s3, s3, 0x2aaaaa00
	s_mul_hi_u32 s13, s2, -6
	s_sub_i32 s13, s13, s2
	s_mul_i32 s18, s3, -6
	s_mul_i32 s4, s2, -6
	s_add_i32 s13, s13, s18
	s_mul_hi_u32 s5, s3, s4
	s_mul_i32 s12, s3, s4
	s_mul_i32 s19, s2, s13
	s_mul_hi_u32 s4, s2, s4
	s_mul_hi_u32 s18, s2, s13
	s_add_u32 s4, s4, s19
	s_addc_u32 s18, 0, s18
	s_add_u32 s4, s4, s12
	s_mul_hi_u32 s19, s3, s13
	s_addc_u32 s4, s18, s5
	v_lshrrev_b32_e32 v5, 16, v1
	s_addc_u32 s5, s19, 0
	s_mul_i32 s12, s3, s13
	v_mov_b32_e32 v1, s33
	v_add_co_u32_e32 v6, vcc, s46, v5
	s_add_u32 s4, s4, s12
	v_addc_co_u32_e32 v7, vcc, 0, v1, vcc
	v_mov_b32_e32 v1, s4
	s_addc_u32 s5, 0, s5
	v_add_co_u32_e32 v3, vcc, s2, v1
	s_cmp_lg_u64 vcc, 0
	s_addc_u32 s4, s3, s5
	v_mad_u64_u32 v[1:2], s[2:3], v6, s4, 0
	v_mul_hi_u32 v4, v6, v3
	s_waitcnt lgkmcnt(0)
	s_barrier
	v_add_co_u32_e32 v8, vcc, v4, v1
	v_addc_co_u32_e32 v9, vcc, 0, v2, vcc
	v_mad_u64_u32 v[1:2], s[2:3], v7, v3, 0
	v_mad_u64_u32 v[3:4], s[2:3], v7, s4, 0
	v_add_co_u32_e32 v1, vcc, v8, v1
	v_addc_co_u32_e32 v1, vcc, v9, v2, vcc
	v_addc_co_u32_e32 v2, vcc, 0, v4, vcc
	v_add_co_u32_e32 v1, vcc, v1, v3
	v_addc_co_u32_e32 v3, vcc, 0, v2, vcc
	v_mad_u64_u32 v[1:2], s[2:3], v1, 6, 0
	v_mad_u64_u32 v[2:3], s[2:3], v3, 6, v[2:3]
	v_sub_co_u32_e32 v1, vcc, v6, v1
	v_subb_co_u32_e32 v2, vcc, v7, v2, vcc
	v_subrev_co_u32_e32 v3, vcc, 6, v1
	v_subbrev_co_u32_e32 v4, vcc, 0, v2, vcc
	v_cmp_lt_u32_e32 vcc, 5, v3
	v_cndmask_b32_e64 v6, 0, -1, vcc
	v_cmp_eq_u32_e32 vcc, 0, v4
	v_cndmask_b32_e32 v4, -1, v6, vcc
	v_add_u32_e32 v6, -6, v3
	v_cmp_ne_u32_e32 vcc, 0, v4
	v_cndmask_b32_e32 v3, v3, v6, vcc
	v_cmp_lt_u32_e32 vcc, 5, v1
	v_cndmask_b32_e64 v4, 0, -1, vcc
	v_cmp_eq_u32_e32 vcc, 0, v2
	v_cndmask_b32_e32 v2, -1, v4, vcc
	v_cmp_ne_u32_e32 vcc, 0, v2
	v_cndmask_b32_e32 v1, v1, v3, vcc
	v_mul_u32_u24_e32 v11, 0x151, v1
	v_mul_lo_u16_e32 v1, 56, v5
	v_sub_u16_e32 v46, v0, v1
	v_lshl_add_u32 v12, v11, 4, 0
	v_lshlrev_b32_e32 v10, 4, v46
	v_add_u32_e32 v45, v12, v10
	v_sub_u32_e32 v9, v12, v10
	ds_read_b64 v[5:6], v45
	ds_read_b64 v[7:8], v9 offset:5376
	s_add_u32 s2, s16, 0x14a0
	s_addc_u32 s3, s17, 0
	v_cmp_ne_u16_e32 vcc, 0, v46
	s_waitcnt lgkmcnt(0)
	v_add_f64 v[1:2], v[5:6], v[7:8]
	v_add_f64 v[3:4], v[5:6], -v[7:8]
	s_and_saveexec_b64 s[4:5], vcc
	s_xor_b64 s[4:5], exec, s[4:5]
	s_cbranch_execz .LBB0_29
; %bb.28:
	global_load_dwordx4 v[12:15], v10, s[2:3]
	ds_read_b64 v[1:2], v9 offset:5384
	ds_read_b64 v[3:4], v45 offset:8
	v_add_f64 v[16:17], v[5:6], v[7:8]
	v_add_f64 v[18:19], v[5:6], -v[7:8]
	s_waitcnt lgkmcnt(0)
	v_add_f64 v[5:6], v[1:2], v[3:4]
	v_add_f64 v[1:2], v[3:4], -v[1:2]
	s_waitcnt vmcnt(0)
	v_fma_f64 v[3:4], v[18:19], v[14:15], v[16:17]
	v_fma_f64 v[7:8], -v[18:19], v[14:15], v[16:17]
	v_fma_f64 v[16:17], v[5:6], v[14:15], -v[1:2]
	v_fma_f64 v[14:15], v[5:6], v[14:15], v[1:2]
	v_fma_f64 v[1:2], -v[5:6], v[12:13], v[3:4]
	v_fma_f64 v[5:6], v[5:6], v[12:13], v[7:8]
	v_fma_f64 v[7:8], v[18:19], v[12:13], v[16:17]
	;; [unrolled: 1-line block ×3, first 2 shown]
                                        ; implicit-def: $vgpr12
	ds_write_b128 v9, v[5:8] offset:5376
.LBB0_29:
	s_andn2_saveexec_b64 s[4:5], s[4:5]
	s_cbranch_execz .LBB0_31
; %bb.30:
	ds_read_b128 v[5:8], v12 offset:2688
	s_waitcnt lgkmcnt(0)
	v_add_f64 v[5:6], v[5:6], v[5:6]
	v_mul_f64 v[7:8], v[7:8], -2.0
	ds_write_b128 v12, v[5:8] offset:2688
.LBB0_31:
	s_or_b64 exec, exec, s[4:5]
	global_load_dwordx4 v[5:8], v10, s[2:3] offset:896
	global_load_dwordx4 v[12:15], v10, s[2:3] offset:1792
	ds_write_b128 v45, v[1:4]
	ds_read_b128 v[1:4], v45 offset:896
	ds_read_b128 v[16:19], v9 offset:4480
	v_lshlrev_b32_e32 v48, 4, v11
	v_add3_u32 v47, 0, v10, v48
	s_mov_b32 s2, 0xe8584caa
	s_mov_b32 s3, 0xbfebb67a
	s_waitcnt lgkmcnt(0)
	v_add_f64 v[20:21], v[1:2], v[16:17]
	v_add_f64 v[22:23], v[18:19], v[3:4]
	v_add_f64 v[24:25], v[1:2], -v[16:17]
	v_add_f64 v[1:2], v[3:4], -v[18:19]
	s_mov_b32 s5, 0x3febb67a
	s_mov_b32 s4, s2
	s_movk_i32 s12, 0x50
	v_mad_u32_u24 v41, v46, s12, v47
	v_cmp_gt_u16_e32 vcc, 48, v46
	s_waitcnt vmcnt(1)
	v_fma_f64 v[3:4], v[24:25], v[7:8], v[20:21]
	v_fma_f64 v[16:17], v[22:23], v[7:8], v[1:2]
	v_fma_f64 v[18:19], -v[24:25], v[7:8], v[20:21]
	v_fma_f64 v[7:8], v[22:23], v[7:8], -v[1:2]
	v_fma_f64 v[1:2], -v[22:23], v[5:6], v[3:4]
	v_fma_f64 v[3:4], v[24:25], v[5:6], v[16:17]
	v_fma_f64 v[16:17], v[22:23], v[5:6], v[18:19]
	;; [unrolled: 1-line block ×3, first 2 shown]
	ds_write_b128 v45, v[1:4] offset:896
	ds_write_b128 v9, v[16:19] offset:4480
	ds_read_b128 v[1:4], v45 offset:1792
	ds_read_b128 v[5:8], v9 offset:3584
	s_waitcnt lgkmcnt(0)
	v_add_f64 v[16:17], v[1:2], v[5:6]
	v_add_f64 v[18:19], v[7:8], v[3:4]
	v_add_f64 v[20:21], v[1:2], -v[5:6]
	v_add_f64 v[1:2], v[3:4], -v[7:8]
	s_waitcnt vmcnt(0)
	v_fma_f64 v[3:4], v[20:21], v[14:15], v[16:17]
	v_fma_f64 v[5:6], v[18:19], v[14:15], v[1:2]
	v_fma_f64 v[7:8], -v[20:21], v[14:15], v[16:17]
	v_fma_f64 v[14:15], v[18:19], v[14:15], -v[1:2]
	v_fma_f64 v[1:2], -v[18:19], v[12:13], v[3:4]
	v_fma_f64 v[3:4], v[20:21], v[12:13], v[5:6]
	v_fma_f64 v[5:6], v[18:19], v[12:13], v[7:8]
	;; [unrolled: 1-line block ×3, first 2 shown]
	ds_write_b128 v45, v[1:4] offset:1792
	ds_write_b128 v9, v[5:8] offset:3584
	s_waitcnt lgkmcnt(0)
	s_barrier
	s_barrier
	ds_read_b128 v[1:4], v47 offset:1792
	ds_read_b128 v[5:8], v47 offset:2688
	;; [unrolled: 1-line block ×4, first 2 shown]
	ds_read_b128 v[17:20], v45
	ds_read_b128 v[21:24], v47 offset:896
	s_waitcnt lgkmcnt(0)
	v_add_f64 v[31:32], v[1:2], v[9:10]
	v_add_f64 v[25:26], v[7:8], v[15:16]
	;; [unrolled: 1-line block ×5, first 2 shown]
	v_add_f64 v[5:6], v[5:6], -v[13:14]
	v_add_f64 v[29:30], v[19:20], v[3:4]
	v_add_f64 v[33:34], v[3:4], -v[11:12]
	v_add_f64 v[3:4], v[3:4], v[11:12]
	v_fma_f64 v[25:26], v[25:26], -0.5, v[23:24]
	v_add_f64 v[23:24], v[23:24], v[7:8]
	v_add_f64 v[39:40], v[1:2], -v[9:10]
	v_add_f64 v[7:8], v[7:8], -v[15:16]
	v_add_f64 v[9:10], v[27:28], v[9:10]
	v_fma_f64 v[21:22], v[37:38], -0.5, v[21:22]
	v_fma_f64 v[17:18], v[31:32], -0.5, v[17:18]
	;; [unrolled: 1-line block ×3, first 2 shown]
	v_fma_f64 v[27:28], v[5:6], s[4:5], v[25:26]
	v_fma_f64 v[5:6], v[5:6], s[2:3], v[25:26]
	v_add_f64 v[15:16], v[23:24], v[15:16]
	v_add_f64 v[13:14], v[35:36], v[13:14]
	;; [unrolled: 1-line block ×3, first 2 shown]
	v_fma_f64 v[23:24], v[7:8], s[2:3], v[21:22]
	v_fma_f64 v[7:8], v[7:8], s[4:5], v[21:22]
	;; [unrolled: 1-line block ×3, first 2 shown]
	v_mul_f64 v[25:26], v[27:28], s[2:3]
	v_mul_f64 v[27:28], v[27:28], 0.5
	v_mul_f64 v[21:22], v[5:6], s[2:3]
	v_mul_f64 v[5:6], v[5:6], -0.5
	v_fma_f64 v[31:32], v[39:40], s[4:5], v[19:20]
	v_fma_f64 v[33:34], v[33:34], s[4:5], v[17:18]
	;; [unrolled: 1-line block ×3, first 2 shown]
	v_add_f64 v[1:2], v[9:10], v[13:14]
	v_fma_f64 v[35:36], v[23:24], 0.5, v[25:26]
	v_fma_f64 v[23:24], v[23:24], s[4:5], v[27:28]
	v_fma_f64 v[21:22], v[7:8], -0.5, v[21:22]
	v_fma_f64 v[39:40], v[7:8], s[4:5], v[5:6]
	v_add_f64 v[3:4], v[11:12], v[15:16]
	v_add_f64 v[5:6], v[9:10], -v[13:14]
	v_add_f64 v[7:8], v[11:12], -v[15:16]
	s_barrier
	v_add_f64 v[25:26], v[29:30], v[35:36]
	v_add_f64 v[27:28], v[31:32], v[23:24]
	v_add_f64 v[9:10], v[29:30], -v[35:36]
	v_add_f64 v[11:12], v[31:32], -v[23:24]
	v_add_f64 v[17:18], v[33:34], v[21:22]
	v_add_f64 v[19:20], v[37:38], v[39:40]
	v_add_f64 v[13:14], v[33:34], -v[21:22]
	v_add_f64 v[15:16], v[37:38], -v[39:40]
	ds_write_b128 v41, v[1:4]
	ds_write_b128 v41, v[5:8] offset:48
	ds_write_b128 v41, v[25:28] offset:16
	;; [unrolled: 1-line block ×5, first 2 shown]
	s_waitcnt lgkmcnt(0)
	s_barrier
	s_waitcnt lgkmcnt(0)
                                        ; implicit-def: $vgpr23_vgpr24
	s_and_saveexec_b64 s[2:3], vcc
	s_cbranch_execz .LBB0_33
; %bb.32:
	ds_read_b128 v[1:4], v45
	ds_read_b128 v[25:28], v47 offset:768
	ds_read_b128 v[17:20], v47 offset:1536
	;; [unrolled: 1-line block ×6, first 2 shown]
.LBB0_33:
	s_or_b64 exec, exec, s[2:3]
	s_movk_i32 s2, 0xab
	v_mul_lo_u16_sdwa v29, v46, s2 dst_sel:DWORD dst_unused:UNUSED_PAD src0_sel:BYTE_0 src1_sel:DWORD
	v_lshrrev_b16_e32 v49, 10, v29
	v_mul_lo_u16_e32 v29, 6, v49
	v_sub_u16_e32 v50, v46, v29
	v_mov_b32_e32 v29, 6
	v_mul_u32_u24_sdwa v29, v50, v29 dst_sel:DWORD dst_unused:UNUSED_PAD src0_sel:BYTE_0 src1_sel:DWORD
	v_lshlrev_b32_e32 v59, 4, v29
	global_load_dwordx4 v[51:54], v59, s[16:17]
	global_load_dwordx4 v[29:32], v59, s[16:17] offset:16
	global_load_dwordx4 v[55:58], v59, s[16:17] offset:80
	;; [unrolled: 1-line block ×5, first 2 shown]
	s_mov_b32 s4, 0x37e14327
	s_mov_b32 s2, 0x36b3c0b5
	s_mov_b32 s12, 0xe976ee23
	s_mov_b32 s5, 0x3fe948f6
	s_mov_b32 s3, 0x3fac98ee
	s_mov_b32 s13, 0x3fe11646
	s_mov_b32 s22, 0x429ad128
	s_mov_b32 s23, 0xbfebfeb5
	s_mov_b32 s18, 0xaaaaaaaa
	s_mov_b32 s21, 0x3fe77f67
	s_mov_b32 s20, 0x5476071b
	s_mov_b32 s29, 0xbfd5d0dc
	s_mov_b32 s28, 0xb247c609
	s_mov_b32 s19, 0xbff2aaaa
	s_mov_b32 s30, 0x37c3f68c
	s_mov_b32 s31, 0xbfdc38aa
	s_waitcnt vmcnt(0) lgkmcnt(0)
	s_barrier
	v_mul_f64 v[59:60], v[27:28], v[53:54]
	v_mul_f64 v[53:54], v[25:26], v[53:54]
	v_fma_f64 v[25:26], v[25:26], v[51:52], v[59:60]
	v_fma_f64 v[27:28], v[27:28], v[51:52], -v[53:54]
	v_mul_f64 v[51:52], v[19:20], v[31:32]
	v_mul_f64 v[31:32], v[17:18], v[31:32]
	;; [unrolled: 1-line block ×4, first 2 shown]
	v_fma_f64 v[17:18], v[17:18], v[29:30], v[51:52]
	v_fma_f64 v[19:20], v[19:20], v[29:30], -v[31:32]
	v_mul_f64 v[29:30], v[7:8], v[39:40]
	v_mul_f64 v[31:32], v[5:6], v[39:40]
	;; [unrolled: 1-line block ×6, first 2 shown]
	v_fma_f64 v[21:22], v[21:22], v[55:56], v[53:54]
	v_fma_f64 v[23:24], v[23:24], v[55:56], -v[57:58]
	v_fma_f64 v[5:6], v[5:6], v[37:38], v[29:30]
	v_fma_f64 v[7:8], v[7:8], v[37:38], -v[31:32]
	;; [unrolled: 2-line block ×4, first 2 shown]
	v_add_f64 v[29:30], v[25:26], v[21:22]
	v_add_f64 v[31:32], v[27:28], v[23:24]
	v_add_f64 v[21:22], v[25:26], -v[21:22]
	v_add_f64 v[23:24], v[27:28], -v[23:24]
	v_add_f64 v[25:26], v[17:18], v[13:14]
	v_add_f64 v[27:28], v[19:20], v[15:16]
	v_add_f64 v[13:14], v[17:18], -v[13:14]
	v_add_f64 v[15:16], v[19:20], -v[15:16]
	;; [unrolled: 4-line block ×4, first 2 shown]
	v_add_f64 v[29:30], v[29:30], -v[17:18]
	v_add_f64 v[25:26], v[17:18], -v[25:26]
	;; [unrolled: 1-line block ×3, first 2 shown]
	v_add_f64 v[37:38], v[5:6], v[13:14]
	v_add_f64 v[39:40], v[7:8], v[15:16]
	v_add_f64 v[41:42], v[5:6], -v[13:14]
	v_add_f64 v[43:44], v[7:8], -v[15:16]
	;; [unrolled: 1-line block ×5, first 2 shown]
	v_add_f64 v[9:10], v[17:18], v[9:10]
	v_add_f64 v[11:12], v[19:20], v[11:12]
	v_add_f64 v[5:6], v[21:22], -v[5:6]
	v_add_f64 v[7:8], v[23:24], -v[7:8]
	v_add_f64 v[17:18], v[37:38], v[21:22]
	v_add_f64 v[19:20], v[39:40], v[23:24]
	v_mul_f64 v[21:22], v[29:30], s[4:5]
	v_mul_f64 v[23:24], v[25:26], s[2:3]
	;; [unrolled: 1-line block ×8, first 2 shown]
	v_add_f64 v[1:2], v[1:2], v[9:10]
	v_add_f64 v[3:4], v[3:4], v[11:12]
	v_fma_f64 v[23:24], v[33:34], s[20:21], -v[23:24]
	v_fma_f64 v[29:30], v[35:36], s[20:21], -v[29:30]
	s_mov_b32 s21, 0xbfe77f67
	v_fma_f64 v[13:14], v[13:14], s[22:23], -v[37:38]
	v_fma_f64 v[37:38], v[5:6], s[28:29], v[37:38]
	v_fma_f64 v[15:16], v[15:16], s[22:23], -v[39:40]
	v_fma_f64 v[39:40], v[7:8], s[28:29], v[39:40]
	s_mov_b32 s29, 0x3fd5d0dc
	v_fma_f64 v[25:26], v[25:26], s[2:3], v[21:22]
	v_fma_f64 v[27:28], v[27:28], s[2:3], v[31:32]
	v_fma_f64 v[21:22], v[33:34], s[20:21], -v[21:22]
	v_fma_f64 v[31:32], v[35:36], s[20:21], -v[31:32]
	;; [unrolled: 1-line block ×4, first 2 shown]
	v_fma_f64 v[9:10], v[9:10], s[18:19], v[1:2]
	v_fma_f64 v[11:12], v[11:12], s[18:19], v[3:4]
	;; [unrolled: 1-line block ×8, first 2 shown]
	v_add_f64 v[43:44], v[25:26], v[9:10]
	v_add_f64 v[51:52], v[27:28], v[11:12]
	;; [unrolled: 1-line block ×7, first 2 shown]
	v_add_f64 v[11:12], v[51:52], -v[33:34]
	v_add_f64 v[5:6], v[41:42], v[21:22]
	v_add_f64 v[7:8], v[27:28], -v[39:40]
	v_add_f64 v[17:18], v[15:16], -v[13:14]
	v_add_f64 v[19:20], v[37:38], v[23:24]
	v_add_f64 v[13:14], v[13:14], v[15:16]
	v_add_f64 v[15:16], v[23:24], -v[37:38]
	v_add_f64 v[25:26], v[21:22], -v[41:42]
	v_add_f64 v[27:28], v[39:40], v[27:28]
	v_add_f64 v[21:22], v[43:44], -v[35:36]
	v_add_f64 v[23:24], v[33:34], v[51:52]
	s_and_saveexec_b64 s[2:3], vcc
	s_cbranch_execz .LBB0_35
; %bb.34:
	s_movk_i32 s4, 0x2a0
	v_mov_b32_e32 v30, 4
	v_mad_u32_u24 v29, v49, s4, 0
	v_lshlrev_b32_sdwa v30, v30, v50 dst_sel:DWORD dst_unused:UNUSED_PAD src0_sel:DWORD src1_sel:BYTE_0
	v_add3_u32 v29, v29, v30, v48
	ds_write_b128 v29, v[1:4]
	ds_write_b128 v29, v[9:12] offset:96
	ds_write_b128 v29, v[5:8] offset:192
	;; [unrolled: 1-line block ×6, first 2 shown]
.LBB0_35:
	s_or_b64 exec, exec, s[2:3]
	v_cmp_gt_u16_e32 vcc, 42, v46
	s_waitcnt lgkmcnt(0)
	s_barrier
	s_waitcnt lgkmcnt(0)
                                        ; implicit-def: $vgpr31_vgpr32
	s_and_saveexec_b64 s[2:3], vcc
	s_cbranch_execz .LBB0_37
; %bb.36:
	ds_read_b128 v[1:4], v45
	ds_read_b128 v[9:12], v47 offset:672
	ds_read_b128 v[5:8], v47 offset:1344
	;; [unrolled: 1-line block ×7, first 2 shown]
.LBB0_37:
	s_or_b64 exec, exec, s[2:3]
	s_waitcnt lgkmcnt(0)
	s_barrier
	s_and_saveexec_b64 s[2:3], vcc
	s_cbranch_execz .LBB0_39
; %bb.38:
	v_subrev_u32_e32 v33, 42, v46
	v_cndmask_b32_e32 v33, v33, v46, vcc
	v_mul_i32_i24_e32 v33, 7, v33
	v_mov_b32_e32 v34, 0
	v_lshlrev_b64 v[33:34], 4, v[33:34]
	v_mov_b32_e32 v35, s17
	v_add_co_u32_e32 v56, vcc, s16, v33
	v_addc_co_u32_e32 v57, vcc, v35, v34, vcc
	global_load_dwordx4 v[33:36], v[56:57], off offset:576
	global_load_dwordx4 v[37:40], v[56:57], off offset:640
	;; [unrolled: 1-line block ×5, first 2 shown]
	s_mov_b32 s4, 0x667f3bcd
	s_mov_b32 s5, 0x3fe6a09e
	;; [unrolled: 1-line block ×4, first 2 shown]
	s_waitcnt vmcnt(4)
	v_mul_f64 v[58:59], v[9:10], v[35:36]
	v_mul_f64 v[35:36], v[11:12], v[35:36]
	v_fma_f64 v[58:59], v[11:12], v[33:34], -v[58:59]
	v_fma_f64 v[33:34], v[9:10], v[33:34], v[35:36]
	s_waitcnt vmcnt(3)
	v_mul_f64 v[35:36], v[25:26], v[39:40]
	v_mul_f64 v[39:40], v[27:28], v[39:40]
	global_load_dwordx4 v[9:12], v[56:57], off offset:624
	v_fma_f64 v[35:36], v[27:28], v[37:38], -v[35:36]
	v_fma_f64 v[37:38], v[25:26], v[37:38], v[39:40]
	global_load_dwordx4 v[25:28], v[56:57], off offset:672
	s_waitcnt vmcnt(3)
	v_mul_f64 v[39:40], v[19:20], v[50:51]
	v_mul_f64 v[50:51], v[17:18], v[50:51]
	;; [unrolled: 1-line block ×3, first 2 shown]
	v_fma_f64 v[17:18], v[17:18], v[48:49], v[39:40]
	v_mul_f64 v[39:40], v[5:6], v[43:44]
	v_fma_f64 v[19:20], v[19:20], v[48:49], -v[50:51]
	s_waitcnt vmcnt(2)
	v_mul_f64 v[48:49], v[23:24], v[54:55]
	v_fma_f64 v[5:6], v[5:6], v[41:42], v[56:57]
	v_fma_f64 v[7:8], v[7:8], v[41:42], -v[39:40]
	v_mul_f64 v[39:40], v[21:22], v[54:55]
	v_fma_f64 v[21:22], v[21:22], v[52:53], v[48:49]
	v_fma_f64 v[23:24], v[23:24], v[52:53], -v[39:40]
	v_add_f64 v[23:24], v[7:8], -v[23:24]
	v_fma_f64 v[7:8], v[7:8], 2.0, -v[23:24]
	s_waitcnt vmcnt(1)
	v_mul_f64 v[43:44], v[13:14], v[11:12]
	v_mul_f64 v[11:12], v[15:16], v[11:12]
	s_waitcnt vmcnt(0)
	v_mul_f64 v[50:51], v[31:32], v[27:28]
	v_mul_f64 v[27:28], v[29:30], v[27:28]
	v_fma_f64 v[15:16], v[15:16], v[9:10], -v[43:44]
	v_fma_f64 v[9:10], v[13:14], v[9:10], v[11:12]
	v_add_f64 v[13:14], v[5:6], -v[21:22]
	v_fma_f64 v[29:30], v[29:30], v[25:26], v[50:51]
	v_fma_f64 v[25:26], v[31:32], v[25:26], -v[27:28]
	v_add_f64 v[11:12], v[3:4], -v[15:16]
	v_add_f64 v[15:16], v[58:59], -v[35:36]
	;; [unrolled: 1-line block ×4, first 2 shown]
	v_fma_f64 v[5:6], v[5:6], 2.0, -v[13:14]
	v_add_f64 v[21:22], v[17:18], -v[29:30]
	v_add_f64 v[25:26], v[19:20], -v[25:26]
	v_add_f64 v[29:30], v[11:12], -v[13:14]
	v_fma_f64 v[3:4], v[3:4], 2.0, -v[11:12]
	v_fma_f64 v[33:34], v[33:34], 2.0, -v[27:28]
	;; [unrolled: 1-line block ×3, first 2 shown]
	v_add_f64 v[31:32], v[15:16], -v[21:22]
	v_fma_f64 v[17:18], v[17:18], 2.0, -v[21:22]
	v_fma_f64 v[21:22], v[58:59], 2.0, -v[15:16]
	;; [unrolled: 1-line block ×3, first 2 shown]
	v_add_f64 v[13:14], v[27:28], v[25:26]
	v_add_f64 v[25:26], v[9:10], v[23:24]
	v_add_f64 v[23:24], v[3:4], -v[7:8]
	v_fma_f64 v[35:36], v[11:12], 2.0, -v[29:30]
	v_fma_f64 v[37:38], v[15:16], 2.0, -v[31:32]
	v_add_f64 v[7:8], v[33:34], -v[17:18]
	v_add_f64 v[17:18], v[1:2], -v[5:6]
	;; [unrolled: 1-line block ×3, first 2 shown]
	v_fma_f64 v[15:16], v[27:28], 2.0, -v[13:14]
	v_fma_f64 v[39:40], v[9:10], 2.0, -v[25:26]
	v_fma_f64 v[5:6], v[31:32], s[4:5], v[29:30]
	v_fma_f64 v[9:10], v[13:14], s[4:5], v[25:26]
	;; [unrolled: 1-line block ×3, first 2 shown]
	v_fma_f64 v[41:42], v[3:4], 2.0, -v[23:24]
	v_fma_f64 v[43:44], v[1:2], 2.0, -v[17:18]
	;; [unrolled: 1-line block ×4, first 2 shown]
	v_fma_f64 v[33:34], v[15:16], s[12:13], v[39:40]
	v_fma_f64 v[3:4], v[13:14], s[12:13], v[5:6]
	v_add_f64 v[7:8], v[23:24], -v[7:8]
	v_add_f64 v[5:6], v[17:18], v[11:12]
	v_fma_f64 v[1:2], v[31:32], s[4:5], v[9:10]
	v_fma_f64 v[11:12], v[15:16], s[12:13], v[19:20]
	v_add_f64 v[15:16], v[41:42], -v[21:22]
	v_add_f64 v[13:14], v[43:44], -v[27:28]
	v_fma_f64 v[9:10], v[37:38], s[4:5], v[33:34]
	v_fma_f64 v[19:20], v[29:30], 2.0, -v[3:4]
	v_fma_f64 v[23:24], v[23:24], 2.0, -v[7:8]
	;; [unrolled: 1-line block ×8, first 2 shown]
	ds_write_b128 v47, v[5:8] offset:4032
	ds_write_b128 v47, v[21:24] offset:1344
	;; [unrolled: 1-line block ×5, first 2 shown]
	ds_write_b128 v45, v[29:32]
	ds_write_b128 v47, v[25:28] offset:672
	ds_write_b128 v47, v[1:4] offset:4704
.LBB0_39:
	s_or_b64 exec, exec, s[2:3]
	s_movk_i32 s4, 0x187
	s_mul_i32 s2, s7, s26
	s_mul_hi_u32 s3, s6, s26
	v_mul_u32_u24_sdwa v1, v0, s4 dst_sel:DWORD dst_unused:UNUSED_PAD src0_sel:WORD_0 src1_sel:DWORD
	s_add_i32 s3, s3, s2
	s_mul_i32 s2, s6, s26
	v_lshrrev_b32_e32 v2, 17, v1
	s_add_u32 s2, s2, s48
	v_mul_lo_u16_e32 v1, 0x150, v2
	s_addc_u32 s3, s3, s47
	v_sub_u16_e32 v3, v0, v1
	s_mov_b64 s[4:5], -1
	s_and_b64 vcc, exec, s[0:1]
	s_waitcnt lgkmcnt(0)
	s_barrier
	s_cbranch_vccz .LBB0_41
; %bb.40:
	v_mad_u64_u32 v[0:1], s[0:1], s8, v3, 0
	v_mul_lo_u32 v5, s11, v2
	v_mul_lo_u32 v4, s10, v2
	v_mad_u64_u32 v[6:7], s[0:1], s9, v3, v[1:2]
	s_lshl_b64 s[0:1], s[2:3], 4
	s_add_u32 s0, s14, s0
	v_mov_b32_e32 v1, v6
	v_lshlrev_b64 v[0:1], 4, v[0:1]
	s_addc_u32 s1, s15, s1
	v_mov_b32_e32 v6, s1
	v_add_co_u32_e32 v17, vcc, s0, v0
	v_addc_co_u32_e32 v18, vcc, v6, v1, vcc
	v_lshlrev_b64 v[0:1], 4, v[4:5]
	v_add_u32_e32 v5, 1, v2
	v_mad_u64_u32 v[12:13], s[0:1], s10, v5, 0
	v_mul_u32_u24_e32 v7, 0x1510, v2
	v_lshlrev_b32_e32 v8, 4, v3
	v_mov_b32_e32 v4, v13
	v_add3_u32 v16, 0, v7, v8
	v_mad_u64_u32 v[13:14], s[0:1], s11, v5, v[4:5]
	v_or_b32_e32 v19, 2, v2
	ds_read_b128 v[4:7], v16
	ds_read_b128 v[8:11], v16 offset:5392
	v_mad_u64_u32 v[14:15], s[0:1], s10, v19, 0
	v_add_co_u32_e32 v0, vcc, v17, v0
	v_addc_co_u32_e32 v1, vcc, v18, v1, vcc
	s_waitcnt lgkmcnt(1)
	global_store_dwordx4 v[0:1], v[4:7], off
	v_lshlrev_b64 v[0:1], 4, v[12:13]
	v_mov_b32_e32 v4, v15
	v_mad_u64_u32 v[4:5], s[0:1], s11, v19, v[4:5]
	v_add_u32_e32 v5, 3, v2
	v_mad_u64_u32 v[12:13], s[0:1], s10, v5, 0
	v_add_co_u32_e32 v0, vcc, v17, v0
	v_addc_co_u32_e32 v1, vcc, v18, v1, vcc
	s_waitcnt lgkmcnt(0)
	global_store_dwordx4 v[0:1], v[8:11], off
	v_mov_b32_e32 v15, v4
	v_mov_b32_e32 v4, v13
	v_lshlrev_b64 v[0:1], 4, v[14:15]
	v_mad_u64_u32 v[13:14], s[0:1], s11, v5, v[4:5]
	ds_read_b128 v[4:7], v16 offset:10784
	ds_read_b128 v[8:11], v16 offset:16176
	v_or_b32_e32 v19, 4, v2
	v_mad_u64_u32 v[14:15], s[0:1], s10, v19, 0
	v_add_co_u32_e32 v0, vcc, v17, v0
	v_addc_co_u32_e32 v1, vcc, v18, v1, vcc
	s_waitcnt lgkmcnt(1)
	global_store_dwordx4 v[0:1], v[4:7], off
	v_lshlrev_b64 v[0:1], 4, v[12:13]
	v_mov_b32_e32 v4, v15
	v_mad_u64_u32 v[4:5], s[0:1], s11, v19, v[4:5]
	v_add_co_u32_e32 v0, vcc, v17, v0
	v_addc_co_u32_e32 v1, vcc, v18, v1, vcc
	s_waitcnt lgkmcnt(0)
	global_store_dwordx4 v[0:1], v[8:11], off
	v_mov_b32_e32 v15, v4
	v_add_u32_e32 v10, 5, v2
	v_mad_u64_u32 v[0:1], s[0:1], s10, v10, 0
	v_add_u32_e32 v4, 0x5000, v16
	ds_read2_b64 v[4:7], v4 offset0:136 offset1:137
	v_lshlrev_b64 v[8:9], 4, v[14:15]
	v_mad_u64_u32 v[10:11], s[0:1], s11, v10, v[1:2]
	v_add_co_u32_e32 v8, vcc, v17, v8
	v_addc_co_u32_e32 v9, vcc, v18, v9, vcc
	s_waitcnt lgkmcnt(0)
	global_store_dwordx4 v[8:9], v[4:7], off
	v_mov_b32_e32 v1, v10
	v_add_u32_e32 v4, 0x6800, v16
	ds_read2_b64 v[4:7], v4 offset0:42 offset1:43
	v_lshlrev_b64 v[0:1], 4, v[0:1]
	s_mov_b64 s[4:5], 0
	v_add_co_u32_e32 v0, vcc, v17, v0
	v_addc_co_u32_e32 v1, vcc, v18, v1, vcc
	s_waitcnt lgkmcnt(0)
	global_store_dwordx4 v[0:1], v[4:7], off
.LBB0_41:
	s_andn2_b64 vcc, exec, s[4:5]
	s_cbranch_vccnz .LBB0_45
; %bb.42:
	v_mov_b32_e32 v1, s33
	v_add_co_u32_e32 v0, vcc, s46, v2
	v_addc_co_u32_e32 v1, vcc, 0, v1, vcc
	v_cmp_gt_u64_e32 vcc, s[24:25], v[0:1]
	s_and_saveexec_b64 s[0:1], vcc
	s_cbranch_execz .LBB0_45
; %bb.43:
	v_mad_u64_u32 v[4:5], s[0:1], s8, v3, 0
	s_lshl_b64 s[0:1], s[2:3], 4
	s_add_u32 s0, s14, s0
	v_mad_u64_u32 v[5:6], s[2:3], s9, v3, v[5:6]
	s_addc_u32 s1, s15, s1
	v_mov_b32_e32 v6, s1
	v_lshlrev_b64 v[4:5], 4, v[4:5]
	v_lshlrev_b32_e32 v3, 4, v3
	v_add_co_u32_e32 v4, vcc, s0, v4
	v_addc_co_u32_e32 v5, vcc, v6, v5, vcc
	v_mul_u32_u24_e32 v6, 0x1510, v2
	s_mov_b32 s2, 0
	v_add3_u32 v3, v6, v3, 0
	s_mov_b64 s[0:1], 0
.LBB0_44:                               ; =>This Inner Loop Header: Depth=1
	v_add_u32_e32 v14, s2, v2
	v_mad_u64_u32 v[10:11], s[4:5], s10, v14, 0
	s_add_i32 s2, s2, 1
	v_add_co_u32_e32 v12, vcc, s2, v0
	v_addc_co_u32_e32 v13, vcc, 0, v1, vcc
	v_cmp_le_u64_e32 vcc, s[24:25], v[12:13]
	v_mad_u64_u32 v[11:12], s[4:5], s11, v14, v[11:12]
	ds_read_b128 v[6:9], v3
	s_or_b64 s[0:1], vcc, s[0:1]
	v_lshlrev_b64 v[10:11], 4, v[10:11]
	v_add_u32_e32 v3, 0x1510, v3
	v_add_co_u32_e32 v10, vcc, v4, v10
	v_addc_co_u32_e32 v11, vcc, v5, v11, vcc
	s_waitcnt lgkmcnt(0)
	global_store_dwordx4 v[10:11], v[6:9], off
	s_andn2_b64 exec, exec, s[0:1]
	s_cbranch_execnz .LBB0_44
.LBB0_45:
	s_endpgm
.LBB0_46:
                                        ; implicit-def: $vgpr4_vgpr5
	s_branch .LBB0_20
	.section	.rodata,"a",@progbits
	.p2align	6, 0x0
	.amdhsa_kernel fft_rtc_back_len336_factors_6_7_8_wgs_336_tpt_56_dp_op_CI_CI_sbcr_C2R
		.amdhsa_group_segment_fixed_size 0
		.amdhsa_private_segment_fixed_size 0
		.amdhsa_kernarg_size 104
		.amdhsa_user_sgpr_count 6
		.amdhsa_user_sgpr_private_segment_buffer 1
		.amdhsa_user_sgpr_dispatch_ptr 0
		.amdhsa_user_sgpr_queue_ptr 0
		.amdhsa_user_sgpr_kernarg_segment_ptr 1
		.amdhsa_user_sgpr_dispatch_id 0
		.amdhsa_user_sgpr_flat_scratch_init 0
		.amdhsa_user_sgpr_private_segment_size 0
		.amdhsa_uses_dynamic_stack 0
		.amdhsa_system_sgpr_private_segment_wavefront_offset 0
		.amdhsa_system_sgpr_workgroup_id_x 1
		.amdhsa_system_sgpr_workgroup_id_y 0
		.amdhsa_system_sgpr_workgroup_id_z 0
		.amdhsa_system_sgpr_workgroup_info 0
		.amdhsa_system_vgpr_workitem_id 0
		.amdhsa_next_free_vgpr 61
		.amdhsa_next_free_sgpr 55
		.amdhsa_reserve_vcc 1
		.amdhsa_reserve_flat_scratch 0
		.amdhsa_float_round_mode_32 0
		.amdhsa_float_round_mode_16_64 0
		.amdhsa_float_denorm_mode_32 3
		.amdhsa_float_denorm_mode_16_64 3
		.amdhsa_dx10_clamp 1
		.amdhsa_ieee_mode 1
		.amdhsa_fp16_overflow 0
		.amdhsa_exception_fp_ieee_invalid_op 0
		.amdhsa_exception_fp_denorm_src 0
		.amdhsa_exception_fp_ieee_div_zero 0
		.amdhsa_exception_fp_ieee_overflow 0
		.amdhsa_exception_fp_ieee_underflow 0
		.amdhsa_exception_fp_ieee_inexact 0
		.amdhsa_exception_int_div_zero 0
	.end_amdhsa_kernel
	.text
.Lfunc_end0:
	.size	fft_rtc_back_len336_factors_6_7_8_wgs_336_tpt_56_dp_op_CI_CI_sbcr_C2R, .Lfunc_end0-fft_rtc_back_len336_factors_6_7_8_wgs_336_tpt_56_dp_op_CI_CI_sbcr_C2R
                                        ; -- End function
	.section	.AMDGPU.csdata,"",@progbits
; Kernel info:
; codeLenInByte = 7832
; NumSgprs: 59
; NumVgprs: 61
; ScratchSize: 0
; MemoryBound: 0
; FloatMode: 240
; IeeeMode: 1
; LDSByteSize: 0 bytes/workgroup (compile time only)
; SGPRBlocks: 7
; VGPRBlocks: 15
; NumSGPRsForWavesPerEU: 59
; NumVGPRsForWavesPerEU: 61
; Occupancy: 4
; WaveLimiterHint : 1
; COMPUTE_PGM_RSRC2:SCRATCH_EN: 0
; COMPUTE_PGM_RSRC2:USER_SGPR: 6
; COMPUTE_PGM_RSRC2:TRAP_HANDLER: 0
; COMPUTE_PGM_RSRC2:TGID_X_EN: 1
; COMPUTE_PGM_RSRC2:TGID_Y_EN: 0
; COMPUTE_PGM_RSRC2:TGID_Z_EN: 0
; COMPUTE_PGM_RSRC2:TIDIG_COMP_CNT: 0
	.type	__hip_cuid_a074fb0537a77991,@object ; @__hip_cuid_a074fb0537a77991
	.section	.bss,"aw",@nobits
	.globl	__hip_cuid_a074fb0537a77991
__hip_cuid_a074fb0537a77991:
	.byte	0                               ; 0x0
	.size	__hip_cuid_a074fb0537a77991, 1

	.ident	"AMD clang version 19.0.0git (https://github.com/RadeonOpenCompute/llvm-project roc-6.4.0 25133 c7fe45cf4b819c5991fe208aaa96edf142730f1d)"
	.section	".note.GNU-stack","",@progbits
	.addrsig
	.addrsig_sym __hip_cuid_a074fb0537a77991
	.amdgpu_metadata
---
amdhsa.kernels:
  - .args:
      - .actual_access:  read_only
        .address_space:  global
        .offset:         0
        .size:           8
        .value_kind:     global_buffer
      - .offset:         8
        .size:           8
        .value_kind:     by_value
      - .actual_access:  read_only
        .address_space:  global
        .offset:         16
        .size:           8
        .value_kind:     global_buffer
      - .actual_access:  read_only
        .address_space:  global
        .offset:         24
        .size:           8
        .value_kind:     global_buffer
      - .actual_access:  read_only
        .address_space:  global
        .offset:         32
        .size:           8
        .value_kind:     global_buffer
      - .offset:         40
        .size:           8
        .value_kind:     by_value
      - .actual_access:  read_only
        .address_space:  global
        .offset:         48
        .size:           8
        .value_kind:     global_buffer
      - .actual_access:  read_only
        .address_space:  global
        .offset:         56
        .size:           8
        .value_kind:     global_buffer
      - .offset:         64
        .size:           4
        .value_kind:     by_value
      - .actual_access:  read_only
        .address_space:  global
        .offset:         72
        .size:           8
        .value_kind:     global_buffer
      - .actual_access:  read_only
        .address_space:  global
        .offset:         80
        .size:           8
        .value_kind:     global_buffer
      - .actual_access:  read_only
        .address_space:  global
        .offset:         88
        .size:           8
        .value_kind:     global_buffer
      - .actual_access:  write_only
        .address_space:  global
        .offset:         96
        .size:           8
        .value_kind:     global_buffer
    .group_segment_fixed_size: 0
    .kernarg_segment_align: 8
    .kernarg_segment_size: 104
    .language:       OpenCL C
    .language_version:
      - 2
      - 0
    .max_flat_workgroup_size: 336
    .name:           fft_rtc_back_len336_factors_6_7_8_wgs_336_tpt_56_dp_op_CI_CI_sbcr_C2R
    .private_segment_fixed_size: 0
    .sgpr_count:     59
    .sgpr_spill_count: 0
    .symbol:         fft_rtc_back_len336_factors_6_7_8_wgs_336_tpt_56_dp_op_CI_CI_sbcr_C2R.kd
    .uniform_work_group_size: 1
    .uses_dynamic_stack: false
    .vgpr_count:     61
    .vgpr_spill_count: 0
    .wavefront_size: 64
amdhsa.target:   amdgcn-amd-amdhsa--gfx906
amdhsa.version:
  - 1
  - 2
...

	.end_amdgpu_metadata
